;; amdgpu-corpus repo=ROCm/rocFFT kind=compiled arch=gfx950 opt=O3
	.text
	.amdgcn_target "amdgcn-amd-amdhsa--gfx950"
	.amdhsa_code_object_version 6
	.protected	bluestein_single_back_len140_dim1_sp_op_CI_CI ; -- Begin function bluestein_single_back_len140_dim1_sp_op_CI_CI
	.globl	bluestein_single_back_len140_dim1_sp_op_CI_CI
	.p2align	8
	.type	bluestein_single_back_len140_dim1_sp_op_CI_CI,@function
bluestein_single_back_len140_dim1_sp_op_CI_CI: ; @bluestein_single_back_len140_dim1_sp_op_CI_CI
; %bb.0:
	s_load_dwordx4 s[8:11], s[0:1], 0x28
	v_mul_u32_u24_e32 v1, 0x925, v0
	v_lshrrev_b32_e32 v1, 16, v1
	v_lshl_add_u32 v32, s2, 1, v1
	v_mov_b32_e32 v33, 0
	s_waitcnt lgkmcnt(0)
	v_cmp_gt_u64_e32 vcc, s[8:9], v[32:33]
	s_and_saveexec_b64 s[2:3], vcc
	s_cbranch_execz .LBB0_25
; %bb.1:
	s_load_dwordx2 s[8:9], s[0:1], 0x0
	s_load_dwordx2 s[12:13], s[0:1], 0x38
	v_mul_lo_u16_e32 v2, 28, v1
	v_sub_u16_e32 v33, v0, v2
	v_and_b32_e32 v0, 1, v1
	v_mov_b32_e32 v1, 0x8c
	v_cmp_eq_u32_e32 vcc, 1, v0
	v_lshlrev_b32_e32 v64, 3, v33
	s_nop 0
	v_cndmask_b32_e32 v14, 0, v1, vcc
	v_cmp_gt_u16_e32 vcc, 20, v33
	v_lshlrev_b32_e32 v65, 3, v14
	s_and_saveexec_b64 s[2:3], vcc
	s_cbranch_execz .LBB0_3
; %bb.2:
	s_load_dwordx2 s[4:5], s[0:1], 0x18
	v_mov_b32_e32 v0, s10
	v_mov_b32_e32 v1, s11
	;; [unrolled: 1-line block ×3, first 2 shown]
	v_add_u32_e32 v34, v65, v64
	s_waitcnt lgkmcnt(0)
	s_load_dwordx4 s[4:7], s[4:5], 0x0
	s_waitcnt lgkmcnt(0)
	v_mad_u64_u32 v[2:3], s[10:11], s6, v32, 0
	v_mad_u64_u32 v[4:5], s[10:11], s4, v33, 0
	v_mov_b32_e32 v6, v3
	v_mov_b32_e32 v8, v5
	v_mad_u64_u32 v[6:7], s[6:7], s7, v32, v[6:7]
	v_mov_b32_e32 v3, v6
	v_mad_u64_u32 v[6:7], s[6:7], s5, v33, v[8:9]
	v_mov_b32_e32 v5, v6
	v_lshl_add_u64 v[0:1], v[2:3], 3, v[0:1]
	v_lshl_add_u64 v[0:1], v[4:5], 3, v[0:1]
	global_load_dwordx2 v[2:3], v[0:1], off
	v_mad_u64_u32 v[0:1], s[6:7], s4, v15, v[0:1]
	s_mul_i32 s10, s5, 0xa0
	v_add_u32_e32 v1, s10, v1
	v_mad_u64_u32 v[8:9], s[6:7], s4, v15, v[0:1]
	v_add_u32_e32 v9, s10, v9
	global_load_dwordx2 v[4:5], v64, s[8:9]
	global_load_dwordx2 v[6:7], v64, s[8:9] offset:160
	global_load_dwordx2 v[10:11], v[0:1], off
	global_load_dwordx2 v[12:13], v[8:9], off
	v_mad_u64_u32 v[0:1], s[6:7], s4, v15, v[8:9]
	v_add_u32_e32 v1, s10, v1
	global_load_dwordx2 v[8:9], v64, s[8:9] offset:320
	global_load_dwordx2 v[16:17], v64, s[8:9] offset:480
	v_mad_u64_u32 v[18:19], s[6:7], s4, v15, v[0:1]
	v_add_u32_e32 v19, s10, v19
	global_load_dwordx2 v[0:1], v[0:1], off
	s_nop 0
	global_load_dwordx2 v[20:21], v[18:19], off
	global_load_dwordx2 v[22:23], v64, s[8:9] offset:640
	v_mad_u64_u32 v[18:19], s[6:7], s4, v15, v[18:19]
	v_add_u32_e32 v19, s10, v19
	global_load_dwordx2 v[24:25], v[18:19], off
	global_load_dwordx2 v[26:27], v64, s[8:9] offset:800
	v_mad_u64_u32 v[18:19], s[4:5], s4, v15, v[18:19]
	v_add_u32_e32 v19, s10, v19
	global_load_dwordx2 v[28:29], v64, s[8:9] offset:960
	global_load_dwordx2 v[30:31], v[18:19], off
	v_lshl_add_u32 v15, v33, 3, v65
	s_waitcnt vmcnt(12)
	v_mul_f32_e32 v18, v3, v5
	v_mul_f32_e32 v5, v2, v5
	v_fmac_f32_e32 v18, v2, v4
	v_fma_f32 v19, v3, v4, -v5
	s_waitcnt vmcnt(10)
	v_mul_f32_e32 v2, v11, v7
	v_mul_f32_e32 v3, v10, v7
	s_waitcnt vmcnt(8)
	v_mul_f32_e32 v4, v13, v9
	v_mul_f32_e32 v5, v12, v9
	v_fmac_f32_e32 v2, v10, v6
	v_fma_f32 v3, v11, v6, -v3
	v_fmac_f32_e32 v4, v12, v8
	v_fma_f32 v5, v13, v8, -v5
	ds_write_b64 v15, v[18:19]
	ds_write2_b64 v34, v[2:3], v[4:5] offset0:20 offset1:40
	s_waitcnt vmcnt(6)
	v_mul_f32_e32 v2, v1, v17
	v_mul_f32_e32 v3, v0, v17
	v_fmac_f32_e32 v2, v0, v16
	v_fma_f32 v3, v1, v16, -v3
	s_waitcnt vmcnt(4)
	v_mul_f32_e32 v0, v21, v23
	v_mul_f32_e32 v1, v20, v23
	v_fmac_f32_e32 v0, v20, v22
	v_fma_f32 v1, v21, v22, -v1
	ds_write2_b64 v34, v[2:3], v[0:1] offset0:60 offset1:80
	s_waitcnt vmcnt(2)
	v_mul_f32_e32 v0, v25, v27
	v_mul_f32_e32 v1, v24, v27
	s_waitcnt vmcnt(0)
	v_mul_f32_e32 v2, v31, v29
	v_mul_f32_e32 v3, v30, v29
	v_fmac_f32_e32 v0, v24, v26
	v_fma_f32 v1, v25, v26, -v1
	v_fmac_f32_e32 v2, v30, v28
	v_fma_f32 v3, v31, v28, -v3
	ds_write2_b64 v34, v[0:1], v[2:3] offset0:100 offset1:120
.LBB0_3:
	s_or_b64 exec, exec, s[2:3]
	s_load_dwordx2 s[2:3], s[0:1], 0x20
	s_load_dwordx2 s[10:11], s[0:1], 0x8
	v_mov_b64_e32 v[2:3], 0
	v_mov_b64_e32 v[4:5], v[2:3]
	;; [unrolled: 1-line block ×4, first 2 shown]
	s_waitcnt lgkmcnt(0)
	; wave barrier
	s_waitcnt lgkmcnt(0)
                                        ; implicit-def: $vgpr12
	s_and_saveexec_b64 s[0:1], vcc
	s_cbranch_execz .LBB0_5
; %bb.4:
	v_lshl_add_u32 v12, v14, 3, v64
	ds_read2_b64 v[0:3], v12 offset1:20
	ds_read2_b64 v[4:7], v12 offset0:40 offset1:60
	ds_read2_b64 v[8:11], v12 offset0:80 offset1:100
	ds_read_b64 v[12:13], v12 offset:960
.LBB0_5:
	s_or_b64 exec, exec, s[0:1]
	s_waitcnt lgkmcnt(0)
	v_pk_add_f32 v[16:17], v[12:13], v[2:3]
	v_pk_add_f32 v[18:19], v[10:11], v[4:5]
	;; [unrolled: 1-line block ×4, first 2 shown]
	v_pk_add_f32 v[2:3], v[2:3], v[12:13] neg_lo:[0,1] neg_hi:[0,1]
	v_pk_add_f32 v[12:13], v[4:5], v[10:11] neg_lo:[0,1] neg_hi:[0,1]
	;; [unrolled: 1-line block ×3, first 2 shown]
	v_pk_add_f32 v[22:23], v[22:23], v[20:21]
	v_pk_add_f32 v[4:5], v[18:19], v[16:17] neg_lo:[0,1] neg_hi:[0,1]
	v_pk_add_f32 v[16:17], v[16:17], v[20:21] neg_lo:[0,1] neg_hi:[0,1]
	v_pk_add_f32 v[6:7], v[12:13], v[24:25]
	s_mov_b32 s6, 0x3f4a47b2
	s_mov_b32 s4, 0x3f3bfb3b
	v_pk_add_f32 v[0:1], v[22:23], v[0:1]
	v_pk_add_f32 v[26:27], v[2:3], v[24:25] neg_lo:[0,1] neg_hi:[0,1]
	v_pk_add_f32 v[10:11], v[12:13], v[2:3] neg_lo:[0,1] neg_hi:[0,1]
	v_pk_add_f32 v[8:9], v[2:3], v[6:7]
	s_mov_b32 s0, 0xbf955555
	v_pk_mul_f32 v[28:29], v[16:17], s[6:7] op_sel_hi:[1,0]
	v_pk_mul_f32 v[2:3], v[4:5], s[4:5] op_sel_hi:[1,0]
	s_mov_b32 s16, 0x3f5ff5aa
	v_pk_mul_f32 v[6:7], v[10:11], s[16:17] op_sel_hi:[1,0]
	v_pk_fma_f32 v[4:5], v[22:23], s[0:1], v[0:1] op_sel_hi:[1,0,1]
	v_pk_add_f32 v[10:11], v[28:29], v[2:3] op_sel:[1,1] op_sel_hi:[0,0] neg_lo:[1,1] neg_hi:[1,1]
	v_pk_add_f32 v[28:29], v[10:11], v[4:5] op_sel:[0,1] op_sel_hi:[1,0]
	v_pk_add_f32 v[10:11], v[20:21], v[18:19] neg_lo:[0,1] neg_hi:[0,1]
	s_mov_b32 s0, 0x3d64c772
	v_pk_mul_f32 v[10:11], v[10:11], s[0:1] op_sel_hi:[1,0]
	v_pk_add_f32 v[12:13], v[24:25], v[12:13] neg_lo:[0,1] neg_hi:[0,1]
	s_mov_b32 s0, 0xbf08b237
	s_mov_b32 s14, 0x3eae86e6
	v_pk_mul_f32 v[12:13], v[12:13], s[0:1] op_sel_hi:[1,0]
	s_mov_b32 s4, 0x3ee1c552
	v_pk_fma_f32 v[22:23], v[26:27], s[14:15], v[6:7] op_sel_hi:[1,0,1] neg_lo:[1,0,1] neg_hi:[1,0,1]
	v_pk_fma_f32 v[16:17], v[16:17], s[6:7], v[10:11] op_sel_hi:[1,0,1]
	v_pk_fma_f32 v[18:19], v[26:27], s[14:15], v[12:13] op_sel_hi:[1,0,1]
	v_pk_add_f32 v[20:21], v[16:17], v[4:5]
	v_pk_fma_f32 v[18:19], v[8:9], s[4:5], v[18:19] op_sel_hi:[1,0,1]
	v_pk_fma_f32 v[16:17], v[8:9], s[4:5], v[22:23] op_sel_hi:[1,0,1]
	v_mul_lo_u16_e32 v68, 7, v33
	v_pk_add_f32 v[38:39], v[28:29], v[16:17] neg_lo:[0,1] neg_hi:[0,1]
	v_pk_add_f32 v[30:31], v[28:29], v[16:17]
	v_pk_add_f32 v[16:17], v[20:21], v[18:19] op_sel:[0,1] op_sel_hi:[1,0] neg_lo:[0,1] neg_hi:[0,1]
	v_pk_add_f32 v[18:19], v[20:21], v[18:19] op_sel:[0,1] op_sel_hi:[1,0]
	s_waitcnt lgkmcnt(0)
	; wave barrier
	s_and_saveexec_b64 s[0:1], vcc
	s_cbranch_execz .LBB0_7
; %bb.6:
	v_add_lshl_u32 v15, v14, v68, 3
	v_mov_b32_e32 v20, v18
	v_mov_b32_e32 v21, v17
	v_pk_mul_f32 v[8:9], v[8:9], s[4:5] op_sel_hi:[1,0]
	ds_write2_b64 v15, v[0:1], v[20:21] offset1:1
	v_pk_add_f32 v[0:1], v[6:7], v[12:13] neg_lo:[0,1] neg_hi:[0,1]
	v_pk_add_f32 v[2:3], v[2:3], v[10:11] neg_lo:[0,1] neg_hi:[0,1]
	v_pk_add_f32 v[0:1], v[0:1], v[8:9]
	v_pk_add_f32 v[2:3], v[2:3], v[4:5]
	v_mov_b32_e32 v17, v19
	v_pk_add_f32 v[4:5], v[2:3], v[0:1] op_sel:[0,1] op_sel_hi:[1,0] neg_lo:[0,1] neg_hi:[0,1]
	v_pk_add_f32 v[0:1], v[2:3], v[0:1] op_sel:[0,1] op_sel_hi:[1,0]
	v_mov_b32_e32 v2, v31
	v_mov_b32_e32 v3, v38
	;; [unrolled: 1-line block ×4, first 2 shown]
	ds_write2_b64 v15, v[2:3], v[6:7] offset0:2 offset1:3
	v_mov_b32_e32 v1, v5
	v_mov_b32_e32 v2, v39
	;; [unrolled: 1-line block ×3, first 2 shown]
	ds_write2_b64 v15, v[0:1], v[2:3] offset0:4 offset1:5
	ds_write_b64 v15, v[16:17] offset:48
.LBB0_7:
	s_or_b64 exec, exec, s[0:1]
	v_mov_b32_e32 v0, 37
	v_mul_lo_u16_sdwa v0, v33, v0 dst_sel:DWORD dst_unused:UNUSED_PAD src0_sel:BYTE_0 src1_sel:DWORD
	v_sub_u16_sdwa v1, v33, v0 dst_sel:DWORD dst_unused:UNUSED_PAD src0_sel:DWORD src1_sel:BYTE_1
	v_lshrrev_b16_e32 v1, 1, v1
	v_and_b32_e32 v1, 0x7f, v1
	v_add_u16_sdwa v0, v1, v0 dst_sel:DWORD dst_unused:UNUSED_PAD src0_sel:DWORD src1_sel:BYTE_1
	v_lshrrev_b16_e32 v15, 2, v0
	v_mul_lo_u16_e32 v0, 7, v15
	v_sub_u16_e32 v17, v33, v0
	v_lshlrev_b16_e32 v0, 2, v17
	v_and_b32_e32 v0, 0xfc, v0
	v_lshlrev_b32_e32 v8, 3, v0
	s_load_dwordx4 s[4:7], s[2:3], 0x0
	s_waitcnt lgkmcnt(0)
	; wave barrier
	s_waitcnt lgkmcnt(0)
	global_load_dwordx4 v[4:7], v8, s[10:11]
	global_load_dwordx4 v[0:3], v8, s[10:11] offset:16
	v_add_lshl_u32 v67, v14, v33, 3
	ds_read2_b64 v[8:11], v67 offset1:28
	ds_read2_b64 v[20:23], v67 offset0:56 offset1:84
	ds_read_b64 v[12:13], v67 offset:896
	v_mad_legacy_u16 v15, v15, 35, v17
	v_and_b32_e32 v15, 0xff, v15
	v_add_lshl_u32 v69, v14, v15, 3
	s_mov_b32 s0, 0x3f737871
	s_mov_b32 s2, 0x3f167918
	;; [unrolled: 1-line block ×3, first 2 shown]
	s_waitcnt lgkmcnt(0)
	; wave barrier
	s_waitcnt lgkmcnt(0)
                                        ; implicit-def: $vgpr38
	s_waitcnt vmcnt(1) lgkmcnt(2)
	v_pk_mul_f32 v[14:15], v[10:11], v[4:5] op_sel:[0,1]
	v_mov_b32_e32 v18, v7
	s_waitcnt vmcnt(0) lgkmcnt(1)
	v_pk_mul_f32 v[24:25], v[22:23], v[0:1] op_sel:[0,1]
	v_mov_b32_e32 v26, v3
	v_pk_fma_f32 v[28:29], v[10:11], v[4:5], v[14:15] op_sel:[0,0,1] op_sel_hi:[1,0,0]
	v_pk_fma_f32 v[10:11], v[10:11], v[4:5], v[14:15] op_sel:[0,0,1] op_sel_hi:[1,0,0] neg_lo:[0,0,1] neg_hi:[0,0,1]
	v_pk_mul_f32 v[14:15], v[20:21], v[18:19] op_sel_hi:[1,0]
	v_pk_fma_f32 v[34:35], v[22:23], v[0:1], v[24:25] op_sel:[0,0,1] op_sel_hi:[1,0,0]
	v_pk_fma_f32 v[22:23], v[22:23], v[0:1], v[24:25] op_sel:[0,0,1] op_sel_hi:[1,0,0] neg_lo:[0,0,1] neg_hi:[0,0,1]
	s_waitcnt lgkmcnt(0)
	v_pk_mul_f32 v[24:25], v[12:13], v[26:27] op_sel_hi:[1,0]
	v_mov_b32_e32 v11, v29
	v_pk_fma_f32 v[26:27], v[20:21], v[6:7], v[14:15] op_sel:[0,0,1] op_sel_hi:[1,0,0]
	v_pk_fma_f32 v[14:15], v[20:21], v[6:7], v[14:15] op_sel:[0,0,1] op_sel_hi:[1,0,0] neg_lo:[0,0,1] neg_hi:[0,0,1]
	v_pk_fma_f32 v[20:21], v[12:13], v[2:3], v[24:25] op_sel:[0,0,1] op_sel_hi:[1,0,0]
	v_pk_fma_f32 v[12:13], v[12:13], v[2:3], v[24:25] op_sel:[0,0,1] op_sel_hi:[1,0,0] neg_lo:[0,0,1] neg_hi:[0,0,1]
	v_mov_b32_e32 v23, v35
	v_mov_b32_e32 v15, v27
	;; [unrolled: 1-line block ×3, first 2 shown]
	v_pk_add_f32 v[20:21], v[8:9], v[10:11]
	v_pk_add_f32 v[24:25], v[14:15], v[22:23]
	;; [unrolled: 1-line block ×4, first 2 shown]
	v_pk_add_f32 v[26:27], v[10:11], v[12:13] neg_lo:[0,1] neg_hi:[0,1]
	v_pk_add_f32 v[28:29], v[14:15], v[22:23] neg_lo:[0,1] neg_hi:[0,1]
	;; [unrolled: 1-line block ×5, first 2 shown]
	v_pk_fma_f32 v[24:25], v[24:25], 0.5, v[8:9] op_sel_hi:[1,0,1] neg_lo:[1,0,0] neg_hi:[1,0,0]
	v_pk_add_f32 v[20:21], v[20:21], v[22:23]
	v_pk_fma_f32 v[8:9], v[40:41], 0.5, v[8:9] op_sel_hi:[1,0,1] neg_lo:[1,0,0] neg_hi:[1,0,0]
	v_pk_add_f32 v[36:37], v[12:13], v[22:23] neg_lo:[0,1] neg_hi:[0,1]
	v_pk_add_f32 v[10:11], v[10:11], v[14:15]
	v_pk_fma_f32 v[14:15], v[26:27], s[0:1], v[24:25] op_sel:[1,0,0] op_sel_hi:[0,0,1]
	v_pk_fma_f32 v[22:23], v[26:27], s[0:1], v[24:25] op_sel:[1,0,0] op_sel_hi:[0,0,1] neg_lo:[1,0,0] neg_hi:[1,0,0]
	v_pk_add_f32 v[12:13], v[20:21], v[12:13]
	v_pk_fma_f32 v[20:21], v[28:29], s[0:1], v[8:9] op_sel:[1,0,0] op_sel_hi:[0,0,1] neg_lo:[1,0,0] neg_hi:[1,0,0]
	v_pk_fma_f32 v[8:9], v[28:29], s[0:1], v[8:9] op_sel:[1,0,0] op_sel_hi:[0,0,1]
	v_pk_fma_f32 v[14:15], v[28:29], s[2:3], v[14:15] op_sel:[1,0,0] op_sel_hi:[0,0,1]
	v_pk_fma_f32 v[22:23], v[28:29], s[2:3], v[22:23] op_sel:[1,0,0] op_sel_hi:[0,0,1] neg_lo:[1,0,0] neg_hi:[1,0,0]
	v_pk_fma_f32 v[8:9], v[26:27], s[2:3], v[8:9] op_sel:[1,0,0] op_sel_hi:[0,0,1] neg_lo:[1,0,0] neg_hi:[1,0,0]
	v_pk_fma_f32 v[20:21], v[26:27], s[2:3], v[20:21] op_sel:[1,0,0] op_sel_hi:[0,0,1]
	v_pk_add_f32 v[34:35], v[34:35], v[36:37]
	v_mov_b32_e32 v24, v22
	v_mov_b32_e32 v25, v15
	;; [unrolled: 1-line block ×6, first 2 shown]
	v_pk_fma_f32 v[14:15], v[34:35], s[14:15], v[14:15] op_sel_hi:[1,0,1]
	v_pk_fma_f32 v[20:21], v[10:11], s[14:15], v[22:23] op_sel_hi:[1,0,1]
	;; [unrolled: 1-line block ×4, first 2 shown]
	ds_write2_b64 v69, v[12:13], v[14:15] offset1:7
	ds_write2_b64 v69, v[20:21], v[8:9] offset0:14 offset1:21
	ds_write_b64 v69, v[28:29] offset:224
	s_waitcnt lgkmcnt(0)
	; wave barrier
	s_waitcnt lgkmcnt(0)
	ds_read2_b64 v[20:23], v67 offset1:35
	ds_read2_b64 v[24:27], v67 offset0:70 offset1:105
	v_cmp_lt_u16_e64 s[2:3], 6, v33
	v_cmp_gt_u16_e64 s[0:1], 7, v33
	s_and_saveexec_b64 s[14:15], s[0:1]
	s_cbranch_execz .LBB0_9
; %bb.8:
	ds_read2_b64 v[16:19], v67 offset0:98 offset1:133
	ds_read2_b64 v[28:31], v67 offset0:28 offset1:63
	s_waitcnt lgkmcnt(1)
	v_mov_b32_e32 v38, v19
	v_mov_b32_e32 v19, v17
	s_waitcnt lgkmcnt(0)
	v_mov_b32_e32 v39, v30
	v_mov_b32_e32 v30, v31
.LBB0_9:
	s_or_b64 exec, exec, s[14:15]
	v_mad_u64_u32 v[8:9], s[14:15], v33, 24, s[10:11]
	global_load_dwordx4 v[12:15], v[8:9], off offset:224
	global_load_dwordx2 v[36:37], v[8:9], off offset:240
	v_add_u32_e32 v8, 28, v33
	v_add_u32_e32 v9, -7, v33
	v_cndmask_b32_e64 v8, v9, v8, s[0:1]
	v_mul_hi_i32_i24_e32 v9, 24, v8
	v_mul_i32_i24_e32 v8, 24, v8
	v_lshl_add_u64 v[40:41], s[10:11], 0, v[8:9]
	global_load_dwordx4 v[8:11], v[40:41], off offset:224
	global_load_dwordx2 v[34:35], v[40:41], off offset:240
	s_waitcnt lgkmcnt(0)
	v_mov_b32_e32 v40, v27
	v_mov_b32_e32 v44, v19
	;; [unrolled: 1-line block ×3, first 2 shown]
	v_lshl_add_u32 v66, v33, 3, v65
	s_waitcnt vmcnt(3)
	v_mov_b32_e32 v46, v15
	v_pk_mul_f32 v[48:49], v[24:25], v[14:15] op_sel:[1,0] op_sel_hi:[0,1]
	s_waitcnt vmcnt(2)
	v_pk_mul_f32 v[50:51], v[26:27], v[36:37]
	v_mov_b32_e32 v52, v37
	v_pk_mul_f32 v[54:55], v[22:23], v[12:13] op_sel:[0,1]
	v_pk_mul_f32 v[46:47], v[24:25], v[46:47] op_sel:[1,0] op_sel_hi:[0,1]
	v_mov_b32_e32 v17, v48
	v_mov_b32_e32 v19, v50
	v_pk_mul_f32 v[48:49], v[26:27], v[52:53]
	v_pk_fma_f32 v[50:51], v[22:23], v[12:13], v[54:55] op_sel:[0,0,1] op_sel_hi:[1,1,0] neg_lo:[0,0,1] neg_hi:[0,0,1]
	v_pk_fma_f32 v[22:23], v[22:23], v[12:13], v[54:55] op_sel:[0,0,1] op_sel_hi:[1,0,0]
	v_pk_fma_f32 v[46:47], v[24:25], v[14:15], v[46:47] neg_lo:[0,0,1] neg_hi:[0,0,1]
	v_pk_fma_f32 v[24:25], v[24:25], v[14:15], v[16:17] op_sel:[1,0,0] op_sel_hi:[0,1,1]
	v_pk_fma_f32 v[26:27], v[26:27], v[36:37], v[18:19] neg_lo:[1,0,0] neg_hi:[1,0,0]
	v_pk_fma_f32 v[40:41], v[40:41], v[36:37], v[48:49]
	v_mov_b32_e32 v51, v23
	v_mov_b32_e32 v22, v23
	;; [unrolled: 1-line block ×3, first 2 shown]
	s_waitcnt vmcnt(1)
	v_pk_mul_f32 v[42:43], v[42:43], v[8:9] op_sel_hi:[0,1]
	v_pk_mul_f32 v[44:45], v[44:45], v[10:11] op_sel_hi:[0,1]
	s_waitcnt vmcnt(0)
	v_pk_mul_f32 v[18:19], v[18:19], v[34:35] op_sel_hi:[0,1]
	v_mov_b32_e32 v47, v25
	v_mov_b32_e32 v41, v27
	v_pk_fma_f32 v[24:25], v[30:31], v[8:9], v[42:43] op_sel:[0,0,1] op_sel_hi:[0,1,0] neg_lo:[1,0,0] neg_hi:[1,0,0]
	v_pk_fma_f32 v[30:31], v[30:31], v[8:9], v[42:43] op_sel:[0,0,1] op_sel_hi:[0,1,0]
	v_pk_fma_f32 v[26:27], v[16:17], v[10:11], v[44:45] op_sel:[0,0,1] op_sel_hi:[0,1,0]
	v_pk_fma_f32 v[16:17], v[16:17], v[10:11], v[44:45] op_sel:[0,0,1] op_sel_hi:[0,1,0] neg_lo:[0,0,1] neg_hi:[0,0,1]
	v_pk_fma_f32 v[42:43], v[38:39], v[34:35], v[18:19] op_sel:[0,0,1] op_sel_hi:[0,1,0] neg_lo:[1,0,0] neg_hi:[1,0,0]
	v_pk_fma_f32 v[18:19], v[38:39], v[34:35], v[18:19] op_sel:[0,0,1] op_sel_hi:[0,1,0]
	v_pk_add_f32 v[38:39], v[20:21], v[46:47] neg_lo:[0,1] neg_hi:[0,1]
	v_pk_add_f32 v[22:23], v[22:23], v[40:41] neg_lo:[0,1] neg_hi:[0,1]
	v_mov_b32_e32 v31, v25
	v_mov_b32_e32 v17, v27
	;; [unrolled: 1-line block ×3, first 2 shown]
	v_pk_add_f32 v[40:41], v[38:39], v[22:23]
	v_pk_add_f32 v[26:27], v[38:39], v[22:23] neg_lo:[0,1] neg_hi:[0,1]
	v_pk_add_f32 v[42:43], v[28:29], v[16:17] neg_lo:[0,1] neg_hi:[0,1]
	v_pk_add_f32 v[16:17], v[30:31], v[18:19] neg_lo:[0,1] neg_hi:[0,1]
	v_mov_b32_e32 v27, v41
	v_pk_fma_f32 v[20:21], v[20:21], 2.0, v[38:39] op_sel_hi:[1,0,1] neg_lo:[0,0,1] neg_hi:[0,0,1]
	v_pk_fma_f32 v[24:25], v[50:51], 2.0, v[22:23] op_sel:[0,0,1] op_sel_hi:[1,0,0] neg_lo:[0,0,1] neg_hi:[0,0,1]
	v_pk_fma_f32 v[22:23], v[38:39], 2.0, v[26:27] op_sel_hi:[1,0,1] neg_lo:[0,0,1] neg_hi:[0,0,1]
	v_pk_fma_f32 v[28:29], v[28:29], 2.0, v[42:43] op_sel_hi:[1,0,1] neg_lo:[0,0,1] neg_hi:[0,0,1]
	;; [unrolled: 1-line block ×3, first 2 shown]
	v_pk_add_f32 v[38:39], v[42:43], v[16:17]
	v_pk_add_f32 v[18:19], v[42:43], v[16:17] neg_lo:[0,1] neg_hi:[0,1]
	v_pk_add_f32 v[24:25], v[20:21], v[24:25] neg_lo:[0,1] neg_hi:[0,1]
	v_pk_add_f32 v[16:17], v[28:29], v[30:31] op_sel:[0,1] op_sel_hi:[1,0] neg_lo:[0,1] neg_hi:[0,1]
	v_mov_b32_e32 v19, v39
	v_pk_fma_f32 v[20:21], v[20:21], 2.0, v[24:25] op_sel_hi:[1,0,1] neg_lo:[0,0,1] neg_hi:[0,0,1]
	v_pk_fma_f32 v[28:29], v[28:29], 2.0, v[16:17] op_sel_hi:[1,0,1] neg_lo:[0,0,1] neg_hi:[0,0,1]
	;; [unrolled: 1-line block ×3, first 2 shown]
	ds_write2_b64 v66, v[20:21], v[22:23] offset1:35
	ds_write2_b64 v66, v[24:25], v[26:27] offset0:70 offset1:105
	s_and_saveexec_b64 s[10:11], s[0:1]
	s_cbranch_execz .LBB0_11
; %bb.10:
	ds_write2_b64 v66, v[28:29], v[30:31] offset0:28 offset1:63
	ds_write2_b64 v66, v[16:17], v[18:19] offset0:98 offset1:133
.LBB0_11:
	s_or_b64 exec, exec, s[10:11]
	s_waitcnt lgkmcnt(0)
	; wave barrier
	s_waitcnt lgkmcnt(0)
	s_and_saveexec_b64 s[10:11], vcc
	s_cbranch_execz .LBB0_13
; %bb.12:
	global_load_dwordx2 v[50:51], v64, s[8:9] offset:1120
	s_add_u32 s14, s8, 0x460
	s_addc_u32 s15, s9, 0
	global_load_dwordx2 v[52:53], v64, s[14:15] offset:160
	global_load_dwordx2 v[54:55], v64, s[14:15] offset:320
	global_load_dwordx2 v[56:57], v64, s[14:15] offset:480
	global_load_dwordx2 v[58:59], v64, s[14:15] offset:640
	global_load_dwordx2 v[60:61], v64, s[14:15] offset:800
	global_load_dwordx2 v[62:63], v64, s[14:15] offset:960
	ds_read2_b64 v[38:41], v66 offset1:20
	ds_read2_b64 v[42:45], v66 offset0:40 offset1:60
	ds_read2_b64 v[46:49], v66 offset0:80 offset1:100
	ds_read_b64 v[70:71], v66 offset:960
	s_waitcnt vmcnt(3) lgkmcnt(2)
	v_mul_f32_e32 v74, v45, v57
	v_mul_f32_e32 v72, v39, v51
	;; [unrolled: 1-line block ×3, first 2 shown]
	v_fma_f32 v72, v38, v50, -v72
	v_fmac_f32_e32 v73, v39, v50
	v_mul_f32_e32 v38, v41, v53
	v_mul_f32_e32 v39, v40, v53
	v_mul_f32_e32 v50, v43, v55
	v_mul_f32_e32 v51, v42, v55
	v_mul_f32_e32 v53, v44, v57
	s_waitcnt vmcnt(2) lgkmcnt(1)
	v_mul_f32_e32 v75, v47, v59
	v_mul_f32_e32 v55, v46, v59
	s_waitcnt vmcnt(1)
	v_mul_f32_e32 v76, v49, v61
	v_mul_f32_e32 v57, v48, v61
	s_waitcnt vmcnt(0) lgkmcnt(0)
	v_mul_f32_e32 v61, v71, v63
	v_mul_f32_e32 v59, v70, v63
	v_fma_f32 v38, v40, v52, -v38
	v_fmac_f32_e32 v39, v41, v52
	v_fma_f32 v50, v42, v54, -v50
	v_fmac_f32_e32 v51, v43, v54
	;; [unrolled: 2-line block ×6, first 2 shown]
	ds_write2_b64 v66, v[72:73], v[38:39] offset1:20
	ds_write2_b64 v66, v[50:51], v[52:53] offset0:40 offset1:60
	ds_write2_b64 v66, v[54:55], v[56:57] offset0:80 offset1:100
	ds_write_b64 v66, v[58:59] offset:960
.LBB0_13:
	s_or_b64 exec, exec, s[10:11]
	s_waitcnt lgkmcnt(0)
	; wave barrier
	s_waitcnt lgkmcnt(0)
	s_and_saveexec_b64 s[10:11], vcc
	s_cbranch_execz .LBB0_15
; %bb.14:
	ds_read2_b64 v[20:23], v66 offset1:20
	ds_read2_b64 v[24:27], v66 offset0:40 offset1:60
	ds_read2_b64 v[28:31], v66 offset0:80 offset1:100
	ds_read_b64 v[16:17], v66 offset:960
.LBB0_15:
	s_or_b64 exec, exec, s[10:11]
	s_waitcnt lgkmcnt(0)
	v_pk_add_f32 v[48:49], v[22:23], v[16:17]
	v_pk_add_f32 v[50:51], v[22:23], v[16:17] neg_lo:[0,1] neg_hi:[0,1]
	v_mov_b32_e32 v74, v16
	v_mov_b32_e32 v76, v22
	v_mov_b32_e32 v22, v29
	v_mov_b32_e32 v16, v27
	v_pk_add_f32 v[52:53], v[24:25], v[30:31]
	v_pk_add_f32 v[24:25], v[24:25], v[30:31] neg_lo:[0,1] neg_hi:[0,1]
	v_mov_b32_e32 v75, v26
	v_mov_b32_e32 v77, v28
	v_pk_add_f32 v[16:17], v[22:23], v[16:17] neg_lo:[0,1] neg_hi:[0,1]
	v_pk_add_f32 v[58:59], v[28:29], v[26:27]
	v_pk_add_f32 v[60:61], v[28:29], v[26:27] neg_lo:[0,1] neg_hi:[0,1]
	v_pk_add_f32 v[74:75], v[74:75], v[76:77]
	v_mov_b32_e32 v26, v25
	v_mov_b32_e32 v27, v16
	;; [unrolled: 1-line block ×6, first 2 shown]
	s_mov_b32 s14, 0xbeae86e6
	v_pk_add_f32 v[76:77], v[16:17], v[26:27] neg_lo:[0,1] neg_hi:[0,1]
	v_mov_b32_e32 v26, v74
	v_mov_b32_e32 v27, v50
	s_mov_b32 s20, 0x3f3bfb3b
	v_mov_b32_e32 v56, v25
	v_mov_b32_e32 v57, v53
	v_pk_add_f32 v[62:63], v[52:53], v[48:49]
	v_add_f32_e32 v24, v60, v24
	v_pk_add_f32 v[70:71], v[50:51], v[60:61] neg_lo:[0,1] neg_hi:[0,1]
	s_mov_b32 s15, 0x3f4a47b2
	v_pk_add_f32 v[26:27], v[54:55], v[26:27] neg_lo:[0,1] neg_hi:[0,1]
	s_mov_b32 s21, 0xbf5ff5aa
	v_mov_b32_e32 v48, v17
	v_add_f32_e32 v24, v24, v50
	v_pk_mul_f32 v[72:73], v[70:71], s[14:15]
	v_pk_add_f32 v[22:23], v[52:53], v[74:75]
	s_mov_b32 s18, 0x3f08b237
	v_pk_mul_f32 v[28:29], v[26:27], s[20:21]
	v_pk_add_f32 v[26:27], v[56:57], v[48:49] neg_lo:[0,1] neg_hi:[0,1]
	v_mov_b32_e32 v48, v75
	v_mov_b32_e32 v49, v60
	s_mov_b32 s10, 0x3d64c772
	v_mul_f32_e32 v31, 0xbee1c552, v24
	v_mov_b32_e32 v24, v75
	v_mov_b32_e32 v23, v22
	v_pk_add_f32 v[50:51], v[48:49], v[54:55] neg_lo:[0,1] neg_hi:[0,1]
	s_mov_b32 s11, s18
	v_mov_b32_e32 v55, v72
	v_mov_b32_e32 v58, v16
	;; [unrolled: 1-line block ×3, first 2 shown]
	v_sub_f32_e32 v30, v59, v53
	v_pk_add_f32 v[52:53], v[74:75], v[24:25] neg_lo:[0,1] neg_hi:[0,1]
	v_pk_add_f32 v[78:79], v[74:75], v[22:23]
	s_mov_b32 s17, 0x3f955555
	s_mov_b32 s16, s15
	v_pk_mul_f32 v[48:49], v[50:51], s[10:11]
	v_pk_fma_f32 v[50:51], v[50:51], s[10:11], v[54:55]
	v_pk_add_f32 v[24:25], v[58:59], v[62:63]
	v_mov_b32_e32 v16, v17
	v_mov_b32_e32 v57, v51
	v_pk_add_f32 v[16:17], v[24:25], v[16:17]
	v_pk_mul_f32 v[50:51], v[24:25], s[16:17]
	v_mov_b32_e32 v24, v79
	v_mov_b32_e32 v17, v51
	v_pk_add_f32 v[50:51], v[20:21], v[24:25]
	v_mul_f32_e32 v47, 0x3d64c772, v30
	v_xor_b32_e32 v46, 0x80000000, v29
	s_mov_b32 s22, s21
	s_mov_b32 s23, s20
	v_mov_b32_e32 v24, 0xbee1c552
	v_mov_b32_e32 v25, v51
	s_mov_b32 s19, s14
	v_pk_mul_f32 v[26:27], v[26:27], s[22:23]
	v_pk_fma_f32 v[54:55], v[70:71], s[14:15], v[46:47]
	v_pk_fma_f32 v[60:61], v[70:71], s[14:15], v[46:47] neg_lo:[1,0,0] neg_hi:[1,0,0]
	v_pk_add_f32 v[58:59], v[24:25], v[16:17] neg_lo:[0,1] neg_hi:[0,1]
	v_pk_mul_f32 v[22:23], v[76:77], s[18:19]
	v_sub_f32_e64 v56, -v73, v27
	v_mov_b32_e32 v61, v55
	v_mov_b32_e32 v30, v59
	;; [unrolled: 1-line block ×4, first 2 shown]
	v_pk_mul_f32 v[20:21], v[24:25], v[16:17]
	v_pk_add_f32 v[54:55], v[30:31], v[56:57]
	v_pk_add_f32 v[56:57], v[60:61], v[58:59]
	v_mov_b32_e32 v16, v48
	v_mov_b32_e32 v17, v50
	v_xor_b32_e32 v61, 0x80000000, v26
	v_mov_b32_e32 v60, v23
	v_pk_mul_f32 v[80:81], v[52:53], s[16:17]
	v_pk_fma_f32 v[24:25], v[52:53], s[16:17], v[48:49]
	v_pk_fma_f32 v[16:17], v[52:53], s[16:17], v[16:17] neg_lo:[1,0,0] neg_hi:[1,0,0]
	v_pk_fma_f32 v[62:63], v[76:77], s[18:19], v[60:61]
	v_pk_fma_f32 v[60:61], v[76:77], s[18:19], v[60:61] neg_lo:[1,0,0] neg_hi:[1,0,0]
	v_mov_b32_e32 v25, v17
	v_sub_f32_e64 v53, -v80, v28
	v_mov_b32_e32 v63, v61
	v_mov_b32_e32 v52, v17
	v_pk_add_f32 v[60:61], v[24:25], v[52:53]
	v_pk_add_f32 v[62:63], v[20:21], v[62:63] op_sel_hi:[0,1]
	v_mov_b32_e32 v44, v4
	v_mov_b32_e32 v45, v4
	;; [unrolled: 1-line block ×12, first 2 shown]
	v_pk_add_f32 v[16:17], v[60:61], v[62:63] neg_lo:[0,1] neg_hi:[0,1]
	v_pk_add_f32 v[24:25], v[56:57], v[54:55]
	s_waitcnt lgkmcnt(0)
	; wave barrier
	s_and_saveexec_b64 s[10:11], vcc
	s_cbranch_execz .LBB0_17
; %bb.16:
	v_mov_b32_e32 v23, v47
	v_mov_b32_e32 v21, v59
	v_pk_add_f32 v[28:29], v[28:29], v[48:49] neg_lo:[0,1] neg_hi:[0,1]
	v_pk_add_f32 v[48:49], v[60:61], v[62:63]
	v_pk_add_f32 v[58:59], v[56:57], v[54:55] neg_lo:[0,1] neg_hi:[0,1]
	v_pk_add_f32 v[22:23], v[26:27], v[22:23] neg_lo:[0,1] neg_hi:[0,1]
	v_mov_b32_e32 v53, v31
	v_lshl_add_u32 v30, v68, 3, v65
	v_mov_b32_e32 v49, v59
	v_pk_add_f32 v[20:21], v[20:21], v[22:23]
	v_pk_add_f32 v[22:23], v[28:29], v[52:53]
	ds_write2_b64 v30, v[50:51], v[48:49] offset1:1
	v_mov_b32_e32 v48, v63
	v_mov_b32_e32 v49, v54
	;; [unrolled: 1-line block ×4, first 2 shown]
	v_pk_add_f32 v[26:27], v[22:23], v[20:21] neg_lo:[0,1] neg_hi:[0,1]
	v_pk_add_f32 v[28:29], v[22:23], v[20:21]
	v_pk_add_f32 v[20:21], v[20:21], v[22:23] neg_lo:[0,1] neg_hi:[0,1]
	v_pk_add_f32 v[54:55], v[48:49], v[50:51]
	v_pk_add_f32 v[48:49], v[48:49], v[50:51] neg_lo:[0,1] neg_hi:[0,1]
	v_mov_b32_e32 v27, v29
	v_mov_b32_e32 v29, v21
	;; [unrolled: 1-line block ×5, first 2 shown]
	ds_write2_b64 v30, v[28:29], v[20:21] offset0:4 offset1:5
	v_mov_b32_e32 v20, v16
	v_mov_b32_e32 v21, v25
	ds_write2_b64 v30, v[54:55], v[26:27] offset0:2 offset1:3
	ds_write_b64 v30, v[20:21] offset:48
.LBB0_17:
	s_or_b64 exec, exec, s[10:11]
	s_waitcnt lgkmcnt(0)
	; wave barrier
	s_waitcnt lgkmcnt(0)
	ds_read2_b64 v[20:23], v67 offset1:28
	ds_read2_b64 v[26:29], v67 offset0:56 offset1:84
	ds_read_b64 v[30:31], v67 offset:896
	s_mov_b32 s10, 0x3f737871
	s_mov_b32 s14, 0x3f167918
	s_waitcnt lgkmcnt(2)
	v_pk_mul_f32 v[4:5], v[4:5], v[22:23]
	s_waitcnt lgkmcnt(1)
	v_pk_mul_f32 v[0:1], v[0:1], v[28:29]
	v_pk_fma_f32 v[46:47], v[44:45], v[22:23], v[4:5] op_sel:[0,0,1] op_sel_hi:[1,1,0]
	v_pk_fma_f32 v[4:5], v[44:45], v[22:23], v[4:5] op_sel:[0,0,1] op_sel_hi:[1,1,0] neg_lo:[0,0,1] neg_hi:[0,0,1]
	s_mov_b32 s16, 0x3e9e377a
	v_mov_b32_e32 v47, v5
	v_pk_mul_f32 v[4:5], v[6:7], v[26:27]
	s_waitcnt lgkmcnt(0)
	v_pk_fma_f32 v[6:7], v[42:43], v[26:27], v[4:5] op_sel:[0,0,1] op_sel_hi:[1,1,0]
	v_pk_fma_f32 v[4:5], v[42:43], v[26:27], v[4:5] op_sel:[0,0,1] op_sel_hi:[1,1,0] neg_lo:[0,0,1] neg_hi:[0,0,1]
	; wave barrier
	s_nop 0
	v_mov_b32_e32 v7, v5
	v_pk_fma_f32 v[4:5], v[40:41], v[28:29], v[0:1] op_sel:[0,0,1] op_sel_hi:[1,1,0]
	v_pk_fma_f32 v[0:1], v[40:41], v[28:29], v[0:1] op_sel:[0,0,1] op_sel_hi:[1,1,0] neg_lo:[0,0,1] neg_hi:[0,0,1]
	v_pk_add_f32 v[28:29], v[46:47], v[6:7] neg_lo:[0,1] neg_hi:[0,1]
	v_mov_b32_e32 v5, v1
	v_pk_mul_f32 v[0:1], v[2:3], v[30:31]
	v_pk_add_f32 v[26:27], v[6:7], v[4:5] neg_lo:[0,1] neg_hi:[0,1]
	v_pk_fma_f32 v[2:3], v[38:39], v[30:31], v[0:1] op_sel:[0,0,1] op_sel_hi:[1,1,0]
	v_pk_fma_f32 v[0:1], v[38:39], v[30:31], v[0:1] op_sel:[0,0,1] op_sel_hi:[1,1,0] neg_lo:[0,0,1] neg_hi:[0,0,1]
	v_pk_add_f32 v[40:41], v[20:21], v[46:47]
	v_mov_b32_e32 v3, v1
	v_pk_add_f32 v[0:1], v[6:7], v[4:5]
	v_pk_add_f32 v[22:23], v[46:47], v[2:3] neg_lo:[0,1] neg_hi:[0,1]
	v_pk_fma_f32 v[0:1], v[0:1], 0.5, v[20:21] op_sel_hi:[1,0,1] neg_lo:[1,0,0] neg_hi:[1,0,0]
	v_pk_add_f32 v[30:31], v[2:3], v[4:5] neg_lo:[0,1] neg_hi:[0,1]
	v_pk_add_f32 v[40:41], v[40:41], v[6:7]
	v_pk_add_f32 v[28:29], v[28:29], v[30:31]
	v_pk_fma_f32 v[30:31], v[22:23], s[10:11], v[0:1] op_sel:[1,0,0] op_sel_hi:[0,0,1]
	v_pk_fma_f32 v[0:1], v[22:23], s[10:11], v[0:1] op_sel:[1,0,0] op_sel_hi:[0,0,1] neg_lo:[1,0,0] neg_hi:[1,0,0]
	v_pk_fma_f32 v[38:39], v[26:27], s[14:15], v[0:1] op_sel:[1,0,0] op_sel_hi:[0,0,1] neg_lo:[1,0,0] neg_hi:[1,0,0]
	v_pk_fma_f32 v[30:31], v[26:27], s[14:15], v[30:31] op_sel:[1,0,0] op_sel_hi:[0,0,1]
	v_mov_b32_e32 v0, v30
	v_mov_b32_e32 v1, v39
	v_pk_add_f32 v[40:41], v[40:41], v[4:5]
	v_mov_b32_e32 v39, v31
	v_pk_fma_f32 v[0:1], v[28:29], s[16:17], v[0:1] op_sel_hi:[1,0,1]
	v_pk_add_f32 v[40:41], v[40:41], v[2:3]
	v_pk_fma_f32 v[28:29], v[28:29], s[16:17], v[38:39] op_sel_hi:[1,0,1]
	ds_write2_b64 v69, v[40:41], v[28:29] offset1:7
	v_pk_add_f32 v[28:29], v[46:47], v[2:3]
	v_pk_add_f32 v[6:7], v[6:7], v[46:47] neg_lo:[0,1] neg_hi:[0,1]
	v_pk_fma_f32 v[20:21], v[28:29], 0.5, v[20:21] op_sel_hi:[1,0,1] neg_lo:[1,0,0] neg_hi:[1,0,0]
	v_pk_add_f32 v[2:3], v[4:5], v[2:3] neg_lo:[0,1] neg_hi:[0,1]
	v_pk_fma_f32 v[4:5], v[26:27], s[10:11], v[20:21] op_sel:[1,0,0] op_sel_hi:[0,0,1]
	v_pk_add_f32 v[2:3], v[6:7], v[2:3]
	v_pk_fma_f32 v[6:7], v[26:27], s[10:11], v[20:21] op_sel:[1,0,0] op_sel_hi:[0,0,1] neg_lo:[1,0,0] neg_hi:[1,0,0]
	v_pk_fma_f32 v[6:7], v[22:23], s[14:15], v[6:7] op_sel:[1,0,0] op_sel_hi:[0,0,1]
	v_pk_fma_f32 v[4:5], v[22:23], s[14:15], v[4:5] op_sel:[1,0,0] op_sel_hi:[0,0,1] neg_lo:[1,0,0] neg_hi:[1,0,0]
	v_mov_b32_e32 v20, v4
	v_mov_b32_e32 v21, v7
	;; [unrolled: 1-line block ×3, first 2 shown]
	v_pk_fma_f32 v[20:21], v[2:3], s[16:17], v[20:21] op_sel_hi:[1,0,1]
	v_pk_fma_f32 v[2:3], v[2:3], s[16:17], v[6:7] op_sel_hi:[1,0,1]
	ds_write2_b64 v69, v[20:21], v[2:3] offset0:14 offset1:21
	ds_write_b64 v69, v[0:1] offset:224
	s_waitcnt lgkmcnt(0)
	; wave barrier
	s_waitcnt lgkmcnt(0)
	ds_read2_b64 v[4:7], v67 offset1:35
	ds_read2_b64 v[20:23], v67 offset0:70 offset1:105
	s_and_saveexec_b64 s[10:11], s[2:3]
	s_xor_b64 s[2:3], exec, s[10:11]
; %bb.18:
                                        ; implicit-def: $vgpr67
; %bb.19:
	s_or_saveexec_b64 s[2:3], s[2:3]
	v_mov_b32_e32 v26, v12
	v_mov_b32_e32 v27, v12
	v_mov_b32_e32 v12, v13
	s_xor_b64 exec, exec, s[2:3]
	s_cbranch_execz .LBB0_21
; %bb.20:
	ds_read2_b64 v[0:3], v67 offset0:28 offset1:63
	ds_read2_b64 v[16:19], v67 offset0:98 offset1:133
	s_waitcnt lgkmcnt(1)
	v_mov_b32_e32 v24, v3
	s_waitcnt lgkmcnt(0)
	v_mov_b32_e32 v25, v17
	v_mov_b32_e32 v17, v2
.LBB0_21:
	s_or_b64 exec, exec, s[2:3]
	s_waitcnt lgkmcnt(1)
	v_pk_mul_f32 v[2:3], v[12:13], v[6:7]
	s_waitcnt lgkmcnt(0)
	v_pk_mul_f32 v[12:13], v[14:15], v[20:21] op_sel:[1,0]
	v_pk_fma_f32 v[30:31], v[26:27], v[6:7], v[2:3] op_sel:[0,0,1] op_sel_hi:[1,1,0]
	v_pk_fma_f32 v[2:3], v[26:27], v[6:7], v[2:3] op_sel:[0,0,1] op_sel_hi:[1,1,0] neg_lo:[0,0,1] neg_hi:[0,0,1]
	v_pk_mul_f32 v[28:29], v[36:37], v[22:23] op_sel:[1,0]
	v_mov_b32_e32 v31, v3
	v_pk_fma_f32 v[2:3], v[14:15], v[20:21], v[12:13] op_sel:[0,0,1] op_sel_hi:[1,1,0]
	v_pk_fma_f32 v[6:7], v[14:15], v[20:21], v[12:13] op_sel:[0,0,1] op_sel_hi:[0,1,0] neg_lo:[0,0,1] neg_hi:[0,0,1]
	v_mov_b32_e32 v3, v7
	v_pk_fma_f32 v[6:7], v[36:37], v[22:23], v[28:29] op_sel:[0,0,1] op_sel_hi:[1,1,0]
	v_pk_fma_f32 v[12:13], v[36:37], v[22:23], v[28:29] op_sel:[0,0,1] op_sel_hi:[0,1,0] neg_lo:[0,0,1] neg_hi:[0,0,1]
	v_mov_b32_e32 v7, v13
	v_pk_add_f32 v[2:3], v[4:5], v[2:3] neg_lo:[0,1] neg_hi:[0,1]
	v_pk_add_f32 v[6:7], v[30:31], v[6:7] neg_lo:[0,1] neg_hi:[0,1]
	v_pk_fma_f32 v[4:5], v[4:5], 2.0, v[2:3] op_sel_hi:[1,0,1] neg_lo:[0,0,1] neg_hi:[0,0,1]
	v_pk_fma_f32 v[12:13], v[30:31], 2.0, v[6:7] op_sel_hi:[1,0,1] neg_lo:[0,0,1] neg_hi:[0,0,1]
	v_pk_add_f32 v[14:15], v[2:3], v[6:7] op_sel:[0,1] op_sel_hi:[1,0]
	v_pk_add_f32 v[6:7], v[2:3], v[6:7] op_sel:[0,1] op_sel_hi:[1,0] neg_lo:[0,1] neg_hi:[0,1]
	v_pk_add_f32 v[12:13], v[4:5], v[12:13] neg_lo:[0,1] neg_hi:[0,1]
	v_mov_b32_e32 v15, v7
	v_pk_fma_f32 v[4:5], v[4:5], 2.0, v[12:13] op_sel_hi:[1,0,1] neg_lo:[0,0,1] neg_hi:[0,0,1]
	v_pk_fma_f32 v[2:3], v[2:3], 2.0, v[14:15] op_sel_hi:[1,0,1] neg_lo:[0,0,1] neg_hi:[0,0,1]
	ds_write2_b64 v66, v[4:5], v[2:3] offset1:35
	ds_write2_b64 v66, v[12:13], v[14:15] offset0:70 offset1:105
	s_and_saveexec_b64 s[2:3], s[0:1]
	s_cbranch_execz .LBB0_23
; %bb.22:
	v_pk_mul_f32 v[2:3], v[10:11], v[24:25] op_sel:[0,1]
	v_pk_mul_f32 v[4:5], v[8:9], v[24:25] op_sel_hi:[1,0]
	v_mov_b32_e32 v6, v19
	v_pk_mul_f32 v[6:7], v[34:35], v[6:7] op_sel_hi:[1,0]
	v_pk_fma_f32 v[12:13], v[10:11], v[16:17], v[2:3] op_sel:[0,0,1] op_sel_hi:[1,1,0]
	v_pk_fma_f32 v[2:3], v[10:11], v[16:17], v[2:3] op_sel:[0,0,1] op_sel_hi:[1,0,0] neg_lo:[1,0,0] neg_hi:[1,0,0]
	v_pk_fma_f32 v[10:11], v[8:9], v[16:17], v[4:5] op_sel:[0,1,1] op_sel_hi:[1,1,0]
	v_pk_fma_f32 v[4:5], v[8:9], v[16:17], v[4:5] op_sel:[0,1,1] op_sel_hi:[1,1,0] neg_lo:[1,0,0] neg_hi:[1,0,0]
	v_mov_b32_e32 v13, v3
	v_mov_b32_e32 v11, v5
	v_pk_fma_f32 v[4:5], v[34:35], v[18:19], v[6:7] op_sel:[0,0,1] op_sel_hi:[1,1,0]
	v_pk_fma_f32 v[6:7], v[34:35], v[18:19], v[6:7] op_sel:[0,0,1] op_sel_hi:[1,0,0] neg_lo:[1,0,0] neg_hi:[1,0,0]
	v_pk_add_f32 v[2:3], v[0:1], v[12:13] neg_lo:[0,1] neg_hi:[0,1]
	v_mov_b32_e32 v5, v7
	v_pk_add_f32 v[4:5], v[10:11], v[4:5] neg_lo:[0,1] neg_hi:[0,1]
	v_pk_fma_f32 v[0:1], v[0:1], 2.0, v[2:3] op_sel_hi:[1,0,1] neg_lo:[0,0,1] neg_hi:[0,0,1]
	v_pk_fma_f32 v[6:7], v[10:11], 2.0, v[4:5] op_sel_hi:[1,0,1] neg_lo:[0,0,1] neg_hi:[0,0,1]
	v_pk_add_f32 v[8:9], v[2:3], v[4:5] op_sel:[0,1] op_sel_hi:[1,0]
	v_pk_add_f32 v[4:5], v[2:3], v[4:5] op_sel:[0,1] op_sel_hi:[1,0] neg_lo:[0,1] neg_hi:[0,1]
	v_pk_add_f32 v[6:7], v[0:1], v[6:7] neg_lo:[0,1] neg_hi:[0,1]
	v_mov_b32_e32 v9, v5
	v_pk_fma_f32 v[0:1], v[0:1], 2.0, v[6:7] op_sel_hi:[1,0,1] neg_lo:[0,0,1] neg_hi:[0,0,1]
	v_pk_fma_f32 v[2:3], v[2:3], 2.0, v[8:9] op_sel_hi:[1,0,1] neg_lo:[0,0,1] neg_hi:[0,0,1]
	ds_write2_b64 v66, v[0:1], v[2:3] offset0:28 offset1:63
	ds_write2_b64 v66, v[6:7], v[8:9] offset0:98 offset1:133
.LBB0_23:
	s_or_b64 exec, exec, s[2:3]
	s_waitcnt lgkmcnt(0)
	; wave barrier
	s_waitcnt lgkmcnt(0)
	s_and_b64 exec, exec, vcc
	s_cbranch_execz .LBB0_25
; %bb.24:
	global_load_dwordx2 v[8:9], v64, s[8:9]
	global_load_dwordx2 v[10:11], v64, s[8:9] offset:160
	global_load_dwordx2 v[12:13], v64, s[8:9] offset:320
	;; [unrolled: 1-line block ×4, first 2 shown]
	ds_read_b64 v[22:23], v66
	ds_read2_b64 v[0:3], v66 offset0:20 offset1:40
	ds_read2_b64 v[4:7], v66 offset0:60 offset1:80
	global_load_dwordx2 v[26:27], v64, s[8:9] offset:800
	global_load_dwordx2 v[28:29], v64, s[8:9] offset:960
	v_mad_u64_u32 v[20:21], s[0:1], s6, v32, 0
	v_mad_u64_u32 v[24:25], s[2:3], s4, v33, 0
	v_mov_b32_e32 v30, v21
	v_mov_b32_e32 v35, 0xa0
	v_mov_b32_e32 v34, v25
	v_mad_u64_u32 v[30:31], s[2:3], s7, v32, v[30:31]
	v_mov_b32_e32 v18, s12
	v_mov_b32_e32 v19, s13
	v_mad_u64_u32 v[32:33], s[2:3], s5, v33, v[34:35]
	v_mov_b32_e32 v21, v30
	v_mov_b32_e32 v25, v32
	v_lshl_add_u64 v[18:19], v[20:21], 3, v[18:19]
	v_lshl_add_u64 v[18:19], v[24:25], 3, v[18:19]
	s_mul_i32 s6, s5, 0xa0
	v_mad_u64_u32 v[20:21], s[2:3], s4, v35, v[18:19]
	s_mov_b32 s0, 0x1d41d41d
	v_add_u32_e32 v21, s6, v21
	s_mov_b32 s1, 0x3f7d41d4
	v_mad_u64_u32 v[24:25], s[2:3], s4, v35, v[20:21]
	v_add_u32_e32 v25, s6, v25
	v_mad_u64_u32 v[30:31], s[2:3], s4, v35, v[24:25]
	v_add_u32_e32 v31, s6, v31
	s_waitcnt vmcnt(6) lgkmcnt(2)
	v_mul_f32_e32 v32, v23, v9
	v_mul_f32_e32 v9, v22, v9
	s_waitcnt vmcnt(5) lgkmcnt(1)
	v_mul_f32_e32 v33, v1, v11
	v_mul_f32_e32 v11, v0, v11
	s_waitcnt vmcnt(4)
	v_mul_f32_e32 v34, v3, v13
	v_mul_f32_e32 v13, v2, v13
	s_waitcnt vmcnt(3) lgkmcnt(0)
	v_mul_f32_e32 v36, v5, v15
	v_mul_f32_e32 v15, v4, v15
	v_fmac_f32_e32 v32, v22, v8
	v_fma_f32 v8, v8, v23, -v9
	s_waitcnt vmcnt(2)
	v_mul_f32_e32 v37, v7, v17
	v_fmac_f32_e32 v33, v0, v10
	v_fma_f32 v9, v10, v1, -v11
	v_fmac_f32_e32 v34, v2, v12
	v_fma_f32 v12, v12, v3, -v13
	;; [unrolled: 2-line block ×3, first 2 shown]
	v_cvt_f64_f32_e32 v[0:1], v32
	v_cvt_f64_f32_e32 v[2:3], v8
	v_fmac_f32_e32 v37, v6, v16
	v_cvt_f64_f32_e32 v[4:5], v33
	v_cvt_f64_f32_e32 v[8:9], v9
	;; [unrolled: 1-line block ×6, first 2 shown]
	v_mul_f64 v[0:1], v[0:1], s[0:1]
	v_mul_f64 v[2:3], v[2:3], s[0:1]
	v_cvt_f64_f32_e32 v[32:33], v37
	v_mul_f64 v[4:5], v[4:5], s[0:1]
	v_mul_f64 v[8:9], v[8:9], s[0:1]
	;; [unrolled: 1-line block ×6, first 2 shown]
	v_cvt_f32_f64_e32 v0, v[0:1]
	v_cvt_f32_f64_e32 v1, v[2:3]
	;; [unrolled: 1-line block ×8, first 2 shown]
	global_store_dwordx2 v[18:19], v[0:1], off
	global_store_dwordx2 v[20:21], v[2:3], off
	;; [unrolled: 1-line block ×4, first 2 shown]
	v_mul_f64 v[0:1], v[32:33], s[0:1]
	v_cvt_f32_f64_e32 v4, v[0:1]
	v_mul_f32_e32 v0, v6, v17
	v_fma_f32 v0, v16, v7, -v0
	v_cvt_f64_f32_e32 v[0:1], v0
	v_mul_f64 v[0:1], v[0:1], s[0:1]
	v_cvt_f32_f64_e32 v5, v[0:1]
	ds_read2_b64 v[0:3], v66 offset0:100 offset1:120
	v_mad_u64_u32 v[6:7], s[2:3], s4, v35, v[30:31]
	v_add_u32_e32 v7, s6, v7
	global_store_dwordx2 v[6:7], v[4:5], off
	s_waitcnt vmcnt(6) lgkmcnt(0)
	v_mul_f32_e32 v4, v1, v27
	v_fmac_f32_e32 v4, v0, v26
	v_mul_f32_e32 v0, v0, v27
	v_fma_f32 v0, v26, v1, -v0
	v_cvt_f64_f32_e32 v[4:5], v4
	v_cvt_f64_f32_e32 v[0:1], v0
	v_mul_f64 v[4:5], v[4:5], s[0:1]
	v_mul_f64 v[0:1], v[0:1], s[0:1]
	v_cvt_f32_f64_e32 v4, v[4:5]
	v_cvt_f32_f64_e32 v5, v[0:1]
	v_mad_u64_u32 v[0:1], s[2:3], s4, v35, v[6:7]
	v_add_u32_e32 v1, s6, v1
	global_store_dwordx2 v[0:1], v[4:5], off
	s_waitcnt vmcnt(6)
	v_mul_f32_e32 v4, v3, v29
	v_fmac_f32_e32 v4, v2, v28
	v_mul_f32_e32 v2, v2, v29
	v_fma_f32 v2, v28, v3, -v2
	v_cvt_f64_f32_e32 v[4:5], v4
	v_cvt_f64_f32_e32 v[2:3], v2
	v_mul_f64 v[4:5], v[4:5], s[0:1]
	v_mul_f64 v[2:3], v[2:3], s[0:1]
	v_mad_u64_u32 v[0:1], s[0:1], s4, v35, v[0:1]
	v_cvt_f32_f64_e32 v4, v[4:5]
	v_cvt_f32_f64_e32 v5, v[2:3]
	v_add_u32_e32 v1, s6, v1
	global_store_dwordx2 v[0:1], v[4:5], off
.LBB0_25:
	s_endpgm
	.section	.rodata,"a",@progbits
	.p2align	6, 0x0
	.amdhsa_kernel bluestein_single_back_len140_dim1_sp_op_CI_CI
		.amdhsa_group_segment_fixed_size 2240
		.amdhsa_private_segment_fixed_size 0
		.amdhsa_kernarg_size 104
		.amdhsa_user_sgpr_count 2
		.amdhsa_user_sgpr_dispatch_ptr 0
		.amdhsa_user_sgpr_queue_ptr 0
		.amdhsa_user_sgpr_kernarg_segment_ptr 1
		.amdhsa_user_sgpr_dispatch_id 0
		.amdhsa_user_sgpr_kernarg_preload_length 0
		.amdhsa_user_sgpr_kernarg_preload_offset 0
		.amdhsa_user_sgpr_private_segment_size 0
		.amdhsa_uses_dynamic_stack 0
		.amdhsa_enable_private_segment 0
		.amdhsa_system_sgpr_workgroup_id_x 1
		.amdhsa_system_sgpr_workgroup_id_y 0
		.amdhsa_system_sgpr_workgroup_id_z 0
		.amdhsa_system_sgpr_workgroup_info 0
		.amdhsa_system_vgpr_workitem_id 0
		.amdhsa_next_free_vgpr 82
		.amdhsa_next_free_sgpr 24
		.amdhsa_accum_offset 84
		.amdhsa_reserve_vcc 1
		.amdhsa_float_round_mode_32 0
		.amdhsa_float_round_mode_16_64 0
		.amdhsa_float_denorm_mode_32 3
		.amdhsa_float_denorm_mode_16_64 3
		.amdhsa_dx10_clamp 1
		.amdhsa_ieee_mode 1
		.amdhsa_fp16_overflow 0
		.amdhsa_tg_split 0
		.amdhsa_exception_fp_ieee_invalid_op 0
		.amdhsa_exception_fp_denorm_src 0
		.amdhsa_exception_fp_ieee_div_zero 0
		.amdhsa_exception_fp_ieee_overflow 0
		.amdhsa_exception_fp_ieee_underflow 0
		.amdhsa_exception_fp_ieee_inexact 0
		.amdhsa_exception_int_div_zero 0
	.end_amdhsa_kernel
	.text
.Lfunc_end0:
	.size	bluestein_single_back_len140_dim1_sp_op_CI_CI, .Lfunc_end0-bluestein_single_back_len140_dim1_sp_op_CI_CI
                                        ; -- End function
	.section	.AMDGPU.csdata,"",@progbits
; Kernel info:
; codeLenInByte = 5340
; NumSgprs: 30
; NumVgprs: 82
; NumAgprs: 0
; TotalNumVgprs: 82
; ScratchSize: 0
; MemoryBound: 0
; FloatMode: 240
; IeeeMode: 1
; LDSByteSize: 2240 bytes/workgroup (compile time only)
; SGPRBlocks: 3
; VGPRBlocks: 10
; NumSGPRsForWavesPerEU: 30
; NumVGPRsForWavesPerEU: 82
; AccumOffset: 84
; Occupancy: 5
; WaveLimiterHint : 1
; COMPUTE_PGM_RSRC2:SCRATCH_EN: 0
; COMPUTE_PGM_RSRC2:USER_SGPR: 2
; COMPUTE_PGM_RSRC2:TRAP_HANDLER: 0
; COMPUTE_PGM_RSRC2:TGID_X_EN: 1
; COMPUTE_PGM_RSRC2:TGID_Y_EN: 0
; COMPUTE_PGM_RSRC2:TGID_Z_EN: 0
; COMPUTE_PGM_RSRC2:TIDIG_COMP_CNT: 0
; COMPUTE_PGM_RSRC3_GFX90A:ACCUM_OFFSET: 20
; COMPUTE_PGM_RSRC3_GFX90A:TG_SPLIT: 0
	.text
	.p2alignl 6, 3212836864
	.fill 256, 4, 3212836864
	.type	__hip_cuid_2b78babde4f70404,@object ; @__hip_cuid_2b78babde4f70404
	.section	.bss,"aw",@nobits
	.globl	__hip_cuid_2b78babde4f70404
__hip_cuid_2b78babde4f70404:
	.byte	0                               ; 0x0
	.size	__hip_cuid_2b78babde4f70404, 1

	.ident	"AMD clang version 19.0.0git (https://github.com/RadeonOpenCompute/llvm-project roc-6.4.0 25133 c7fe45cf4b819c5991fe208aaa96edf142730f1d)"
	.section	".note.GNU-stack","",@progbits
	.addrsig
	.addrsig_sym __hip_cuid_2b78babde4f70404
	.amdgpu_metadata
---
amdhsa.kernels:
  - .agpr_count:     0
    .args:
      - .actual_access:  read_only
        .address_space:  global
        .offset:         0
        .size:           8
        .value_kind:     global_buffer
      - .actual_access:  read_only
        .address_space:  global
        .offset:         8
        .size:           8
        .value_kind:     global_buffer
      - .actual_access:  read_only
        .address_space:  global
        .offset:         16
        .size:           8
        .value_kind:     global_buffer
      - .actual_access:  read_only
        .address_space:  global
        .offset:         24
        .size:           8
        .value_kind:     global_buffer
      - .actual_access:  read_only
        .address_space:  global
        .offset:         32
        .size:           8
        .value_kind:     global_buffer
      - .offset:         40
        .size:           8
        .value_kind:     by_value
      - .address_space:  global
        .offset:         48
        .size:           8
        .value_kind:     global_buffer
      - .address_space:  global
        .offset:         56
        .size:           8
        .value_kind:     global_buffer
      - .address_space:  global
        .offset:         64
        .size:           8
        .value_kind:     global_buffer
      - .address_space:  global
        .offset:         72
        .size:           8
        .value_kind:     global_buffer
      - .offset:         80
        .size:           4
        .value_kind:     by_value
      - .address_space:  global
        .offset:         88
        .size:           8
        .value_kind:     global_buffer
      - .address_space:  global
        .offset:         96
        .size:           8
        .value_kind:     global_buffer
    .group_segment_fixed_size: 2240
    .kernarg_segment_align: 8
    .kernarg_segment_size: 104
    .language:       OpenCL C
    .language_version:
      - 2
      - 0
    .max_flat_workgroup_size: 56
    .name:           bluestein_single_back_len140_dim1_sp_op_CI_CI
    .private_segment_fixed_size: 0
    .sgpr_count:     30
    .sgpr_spill_count: 0
    .symbol:         bluestein_single_back_len140_dim1_sp_op_CI_CI.kd
    .uniform_work_group_size: 1
    .uses_dynamic_stack: false
    .vgpr_count:     82
    .vgpr_spill_count: 0
    .wavefront_size: 64
amdhsa.target:   amdgcn-amd-amdhsa--gfx950
amdhsa.version:
  - 1
  - 2
...

	.end_amdgpu_metadata
